;; amdgpu-corpus repo=ROCm/rocFFT kind=compiled arch=gfx906 opt=O3
	.text
	.amdgcn_target "amdgcn-amd-amdhsa--gfx906"
	.amdhsa_code_object_version 6
	.protected	fft_rtc_back_len1274_factors_2_13_7_7_wgs_182_tpt_182_halfLds_half_op_CI_CI_unitstride_sbrr_dirReg ; -- Begin function fft_rtc_back_len1274_factors_2_13_7_7_wgs_182_tpt_182_halfLds_half_op_CI_CI_unitstride_sbrr_dirReg
	.globl	fft_rtc_back_len1274_factors_2_13_7_7_wgs_182_tpt_182_halfLds_half_op_CI_CI_unitstride_sbrr_dirReg
	.p2align	8
	.type	fft_rtc_back_len1274_factors_2_13_7_7_wgs_182_tpt_182_halfLds_half_op_CI_CI_unitstride_sbrr_dirReg,@function
fft_rtc_back_len1274_factors_2_13_7_7_wgs_182_tpt_182_halfLds_half_op_CI_CI_unitstride_sbrr_dirReg: ; @fft_rtc_back_len1274_factors_2_13_7_7_wgs_182_tpt_182_halfLds_half_op_CI_CI_unitstride_sbrr_dirReg
; %bb.0:
	s_load_dwordx4 s[8:11], s[4:5], 0x58
	s_load_dwordx4 s[12:15], s[4:5], 0x0
	;; [unrolled: 1-line block ×3, first 2 shown]
	v_mul_u32_u24_e32 v1, 0x169, v0
	v_mov_b32_e32 v8, 0
	v_mov_b32_e32 v6, 0
	s_waitcnt lgkmcnt(0)
	v_cmp_lt_u64_e64 s[0:1], s[14:15], 2
	v_add_u32_sdwa v10, s6, v1 dst_sel:DWORD dst_unused:UNUSED_PAD src0_sel:DWORD src1_sel:WORD_1
	v_mov_b32_e32 v11, v8
	s_and_b64 vcc, exec, s[0:1]
	v_mov_b32_e32 v7, 0
	s_cbranch_vccnz .LBB0_8
; %bb.1:
	s_load_dwordx2 s[0:1], s[4:5], 0x10
	s_add_u32 s2, s18, 8
	s_addc_u32 s3, s19, 0
	s_add_u32 s6, s16, 8
	s_addc_u32 s7, s17, 0
	v_mov_b32_e32 v6, 0
	s_waitcnt lgkmcnt(0)
	s_add_u32 s20, s0, 8
	v_mov_b32_e32 v7, 0
	v_mov_b32_e32 v1, v6
	s_addc_u32 s21, s1, 0
	s_mov_b64 s[22:23], 1
	v_mov_b32_e32 v2, v7
.LBB0_2:                                ; =>This Inner Loop Header: Depth=1
	s_load_dwordx2 s[24:25], s[20:21], 0x0
                                        ; implicit-def: $vgpr3_vgpr4
	s_waitcnt lgkmcnt(0)
	v_or_b32_e32 v9, s25, v11
	v_cmp_ne_u64_e32 vcc, 0, v[8:9]
	s_and_saveexec_b64 s[0:1], vcc
	s_xor_b64 s[26:27], exec, s[0:1]
	s_cbranch_execz .LBB0_4
; %bb.3:                                ;   in Loop: Header=BB0_2 Depth=1
	v_cvt_f32_u32_e32 v3, s24
	v_cvt_f32_u32_e32 v4, s25
	s_sub_u32 s0, 0, s24
	s_subb_u32 s1, 0, s25
	v_mac_f32_e32 v3, 0x4f800000, v4
	v_rcp_f32_e32 v3, v3
	v_mul_f32_e32 v3, 0x5f7ffffc, v3
	v_mul_f32_e32 v4, 0x2f800000, v3
	v_trunc_f32_e32 v4, v4
	v_mac_f32_e32 v3, 0xcf800000, v4
	v_cvt_u32_f32_e32 v4, v4
	v_cvt_u32_f32_e32 v3, v3
	v_mul_lo_u32 v5, s0, v4
	v_mul_hi_u32 v9, s0, v3
	v_mul_lo_u32 v13, s1, v3
	v_mul_lo_u32 v12, s0, v3
	v_add_u32_e32 v5, v9, v5
	v_add_u32_e32 v5, v5, v13
	v_mul_hi_u32 v9, v3, v12
	v_mul_lo_u32 v13, v3, v5
	v_mul_hi_u32 v15, v3, v5
	v_mul_hi_u32 v14, v4, v12
	v_mul_lo_u32 v12, v4, v12
	v_mul_hi_u32 v16, v4, v5
	v_add_co_u32_e32 v9, vcc, v9, v13
	v_addc_co_u32_e32 v13, vcc, 0, v15, vcc
	v_mul_lo_u32 v5, v4, v5
	v_add_co_u32_e32 v9, vcc, v9, v12
	v_addc_co_u32_e32 v9, vcc, v13, v14, vcc
	v_addc_co_u32_e32 v12, vcc, 0, v16, vcc
	v_add_co_u32_e32 v5, vcc, v9, v5
	v_addc_co_u32_e32 v9, vcc, 0, v12, vcc
	v_add_co_u32_e32 v3, vcc, v3, v5
	v_addc_co_u32_e32 v4, vcc, v4, v9, vcc
	v_mul_lo_u32 v5, s0, v4
	v_mul_hi_u32 v9, s0, v3
	v_mul_lo_u32 v12, s1, v3
	v_mul_lo_u32 v13, s0, v3
	v_add_u32_e32 v5, v9, v5
	v_add_u32_e32 v5, v5, v12
	v_mul_lo_u32 v14, v3, v5
	v_mul_hi_u32 v15, v3, v13
	v_mul_hi_u32 v16, v3, v5
	v_mul_hi_u32 v12, v4, v13
	v_mul_lo_u32 v13, v4, v13
	v_mul_hi_u32 v9, v4, v5
	v_add_co_u32_e32 v14, vcc, v15, v14
	v_addc_co_u32_e32 v15, vcc, 0, v16, vcc
	v_mul_lo_u32 v5, v4, v5
	v_add_co_u32_e32 v13, vcc, v14, v13
	v_addc_co_u32_e32 v12, vcc, v15, v12, vcc
	v_addc_co_u32_e32 v9, vcc, 0, v9, vcc
	v_add_co_u32_e32 v5, vcc, v12, v5
	v_addc_co_u32_e32 v9, vcc, 0, v9, vcc
	v_add_co_u32_e32 v5, vcc, v3, v5
	v_addc_co_u32_e32 v9, vcc, v4, v9, vcc
	v_mad_u64_u32 v[3:4], s[0:1], v10, v9, 0
	v_mul_hi_u32 v12, v10, v5
	v_add_co_u32_e32 v14, vcc, v12, v3
	v_addc_co_u32_e32 v15, vcc, 0, v4, vcc
	v_mad_u64_u32 v[3:4], s[0:1], v11, v5, 0
	v_mad_u64_u32 v[12:13], s[0:1], v11, v9, 0
	v_add_co_u32_e32 v3, vcc, v14, v3
	v_addc_co_u32_e32 v3, vcc, v15, v4, vcc
	v_addc_co_u32_e32 v4, vcc, 0, v13, vcc
	v_add_co_u32_e32 v5, vcc, v3, v12
	v_addc_co_u32_e32 v9, vcc, 0, v4, vcc
	v_mul_lo_u32 v12, s25, v5
	v_mul_lo_u32 v13, s24, v9
	v_mad_u64_u32 v[3:4], s[0:1], s24, v5, 0
	v_add3_u32 v4, v4, v13, v12
	v_sub_u32_e32 v12, v11, v4
	v_mov_b32_e32 v13, s25
	v_sub_co_u32_e32 v3, vcc, v10, v3
	v_subb_co_u32_e64 v12, s[0:1], v12, v13, vcc
	v_subrev_co_u32_e64 v13, s[0:1], s24, v3
	v_subbrev_co_u32_e64 v12, s[0:1], 0, v12, s[0:1]
	v_cmp_le_u32_e64 s[0:1], s25, v12
	v_cndmask_b32_e64 v14, 0, -1, s[0:1]
	v_cmp_le_u32_e64 s[0:1], s24, v13
	v_cndmask_b32_e64 v13, 0, -1, s[0:1]
	v_cmp_eq_u32_e64 s[0:1], s25, v12
	v_cndmask_b32_e64 v12, v14, v13, s[0:1]
	v_add_co_u32_e64 v13, s[0:1], 2, v5
	v_addc_co_u32_e64 v14, s[0:1], 0, v9, s[0:1]
	v_add_co_u32_e64 v15, s[0:1], 1, v5
	v_addc_co_u32_e64 v16, s[0:1], 0, v9, s[0:1]
	v_subb_co_u32_e32 v4, vcc, v11, v4, vcc
	v_cmp_ne_u32_e64 s[0:1], 0, v12
	v_cmp_le_u32_e32 vcc, s25, v4
	v_cndmask_b32_e64 v12, v16, v14, s[0:1]
	v_cndmask_b32_e64 v14, 0, -1, vcc
	v_cmp_le_u32_e32 vcc, s24, v3
	v_cndmask_b32_e64 v3, 0, -1, vcc
	v_cmp_eq_u32_e32 vcc, s25, v4
	v_cndmask_b32_e32 v3, v14, v3, vcc
	v_cmp_ne_u32_e32 vcc, 0, v3
	v_cndmask_b32_e64 v3, v15, v13, s[0:1]
	v_cndmask_b32_e32 v4, v9, v12, vcc
	v_cndmask_b32_e32 v3, v5, v3, vcc
.LBB0_4:                                ;   in Loop: Header=BB0_2 Depth=1
	s_andn2_saveexec_b64 s[0:1], s[26:27]
	s_cbranch_execz .LBB0_6
; %bb.5:                                ;   in Loop: Header=BB0_2 Depth=1
	v_cvt_f32_u32_e32 v3, s24
	s_sub_i32 s26, 0, s24
	v_rcp_iflag_f32_e32 v3, v3
	v_mul_f32_e32 v3, 0x4f7ffffe, v3
	v_cvt_u32_f32_e32 v3, v3
	v_mul_lo_u32 v4, s26, v3
	v_mul_hi_u32 v4, v3, v4
	v_add_u32_e32 v3, v3, v4
	v_mul_hi_u32 v3, v10, v3
	v_mul_lo_u32 v4, v3, s24
	v_add_u32_e32 v5, 1, v3
	v_sub_u32_e32 v4, v10, v4
	v_subrev_u32_e32 v9, s24, v4
	v_cmp_le_u32_e32 vcc, s24, v4
	v_cndmask_b32_e32 v4, v4, v9, vcc
	v_cndmask_b32_e32 v3, v3, v5, vcc
	v_add_u32_e32 v5, 1, v3
	v_cmp_le_u32_e32 vcc, s24, v4
	v_cndmask_b32_e32 v3, v3, v5, vcc
	v_mov_b32_e32 v4, v8
.LBB0_6:                                ;   in Loop: Header=BB0_2 Depth=1
	s_or_b64 exec, exec, s[0:1]
	v_mul_lo_u32 v5, v4, s24
	v_mul_lo_u32 v9, v3, s25
	v_mad_u64_u32 v[12:13], s[0:1], v3, s24, 0
	s_load_dwordx2 s[0:1], s[6:7], 0x0
	s_load_dwordx2 s[24:25], s[2:3], 0x0
	v_add3_u32 v5, v13, v9, v5
	v_sub_co_u32_e32 v9, vcc, v10, v12
	v_subb_co_u32_e32 v5, vcc, v11, v5, vcc
	s_waitcnt lgkmcnt(0)
	v_mul_lo_u32 v10, s0, v5
	v_mul_lo_u32 v11, s1, v9
	v_mad_u64_u32 v[6:7], s[0:1], s0, v9, v[6:7]
	s_add_u32 s22, s22, 1
	s_addc_u32 s23, s23, 0
	s_add_u32 s2, s2, 8
	v_mul_lo_u32 v5, s24, v5
	v_mul_lo_u32 v12, s25, v9
	v_mad_u64_u32 v[1:2], s[0:1], s24, v9, v[1:2]
	v_add3_u32 v7, v11, v7, v10
	s_addc_u32 s3, s3, 0
	v_mov_b32_e32 v9, s14
	s_add_u32 s6, s6, 8
	v_mov_b32_e32 v10, s15
	s_addc_u32 s7, s7, 0
	v_cmp_ge_u64_e32 vcc, s[22:23], v[9:10]
	s_add_u32 s20, s20, 8
	v_add3_u32 v2, v12, v2, v5
	s_addc_u32 s21, s21, 0
	s_cbranch_vccnz .LBB0_9
; %bb.7:                                ;   in Loop: Header=BB0_2 Depth=1
	v_mov_b32_e32 v11, v4
	v_mov_b32_e32 v10, v3
	s_branch .LBB0_2
.LBB0_8:
	v_mov_b32_e32 v1, v6
	v_mov_b32_e32 v3, v10
	;; [unrolled: 1-line block ×4, first 2 shown]
.LBB0_9:
	s_load_dwordx2 s[2:3], s[4:5], 0x28
	s_lshl_b64 s[6:7], s[14:15], 3
	s_add_u32 s4, s18, s6
	s_addc_u32 s5, s19, s7
                                        ; implicit-def: $sgpr15
                                        ; implicit-def: $sgpr14
                                        ; implicit-def: $vgpr8
	s_waitcnt lgkmcnt(0)
	v_cmp_gt_u64_e64 s[0:1], s[2:3], v[3:4]
	v_cmp_le_u64_e32 vcc, s[2:3], v[3:4]
	s_and_saveexec_b64 s[2:3], vcc
	s_xor_b64 s[2:3], exec, s[2:3]
; %bb.10:
	s_mov_b32 s14, 0x1681682
	v_mul_hi_u32 v5, v0, s14
	s_mov_b32 s14, 0
	s_mov_b32 s15, 0
                                        ; implicit-def: $vgpr6_vgpr7
	v_mul_u32_u24_e32 v5, 0xb6, v5
	v_sub_u32_e32 v8, v0, v5
                                        ; implicit-def: $vgpr0
; %bb.11:
	s_or_saveexec_b64 s[2:3], s[2:3]
	s_load_dwordx2 s[4:5], s[4:5], 0x0
	v_mov_b32_e32 v16, s14
	v_mov_b32_e32 v5, s15
	;; [unrolled: 1-line block ×3, first 2 shown]
                                        ; implicit-def: $vgpr18
                                        ; implicit-def: $vgpr9
                                        ; implicit-def: $vgpr19
                                        ; implicit-def: $vgpr11
                                        ; implicit-def: $vgpr20
                                        ; implicit-def: $vgpr12
                                        ; implicit-def: $vgpr22
                                        ; implicit-def: $vgpr10
                                        ; implicit-def: $vgpr23
                                        ; implicit-def: $vgpr13
                                        ; implicit-def: $vgpr26
                                        ; implicit-def: $vgpr21
                                        ; implicit-def: $vgpr17
                                        ; implicit-def: $vgpr25
	s_xor_b64 exec, exec, s[2:3]
	s_cbranch_execz .LBB0_15
; %bb.12:
	s_add_u32 s6, s16, s6
	s_addc_u32 s7, s17, s7
	s_load_dwordx2 s[6:7], s[6:7], 0x0
	s_mov_b32 s14, 0x1681682
	v_mul_hi_u32 v5, v0, s14
	v_mov_b32_e32 v24, 0
	v_mov_b32_e32 v16, 0
	s_waitcnt lgkmcnt(0)
	v_mul_lo_u32 v11, s7, v3
	v_mul_lo_u32 v12, s6, v4
	v_mad_u64_u32 v[9:10], s[6:7], s6, v3, 0
	v_mul_u32_u24_e32 v5, 0xb6, v5
	v_sub_u32_e32 v8, v0, v5
	v_add3_u32 v10, v10, v12, v11
	v_lshlrev_b64 v[9:10], 2, v[9:10]
	v_mov_b32_e32 v0, s9
	v_add_co_u32_e32 v9, vcc, s8, v9
	v_lshlrev_b64 v[5:6], 2, v[6:7]
	v_addc_co_u32_e32 v0, vcc, v0, v10, vcc
	v_add_co_u32_e32 v5, vcc, v9, v5
	v_addc_co_u32_e32 v0, vcc, v0, v6, vcc
	v_lshlrev_b32_e32 v6, 2, v8
	v_add_co_u32_e32 v5, vcc, v5, v6
	v_addc_co_u32_e32 v6, vcc, 0, v0, vcc
	global_load_dword v9, v[5:6], off
	global_load_dword v12, v[5:6], off offset:728
	global_load_dword v10, v[5:6], off offset:3276
	;; [unrolled: 1-line block ×5, first 2 shown]
	s_movk_i32 s6, 0x5b
	v_cmp_gt_u32_e32 vcc, s6, v8
                                        ; implicit-def: $vgpr25
                                        ; implicit-def: $vgpr17
	s_and_saveexec_b64 s[6:7], vcc
	s_cbranch_execz .LBB0_14
; %bb.13:
	v_add_co_u32_e32 v14, vcc, 0x1000, v5
	v_addc_co_u32_e32 v15, vcc, 0, v6, vcc
	global_load_dword v24, v[5:6], off offset:2184
	global_load_dword v25, v[14:15], off offset:636
	s_waitcnt vmcnt(1)
	v_lshrrev_b32_e32 v16, 16, v24
	s_waitcnt vmcnt(0)
	v_lshrrev_b32_e32 v17, 16, v25
.LBB0_14:
	s_or_b64 exec, exec, s[6:7]
	s_waitcnt vmcnt(5)
	v_lshrrev_b32_e32 v18, 16, v9
	s_waitcnt vmcnt(1)
	v_lshrrev_b32_e32 v19, 16, v11
	v_lshrrev_b32_e32 v20, 16, v12
	;; [unrolled: 1-line block ×3, first 2 shown]
	s_waitcnt vmcnt(0)
	v_lshrrev_b32_e32 v23, 16, v13
	v_lshrrev_b32_e32 v26, 16, v21
	v_mov_b32_e32 v5, v8
.LBB0_15:
	s_or_b64 exec, exec, s[2:3]
	v_sub_f16_e32 v14, v9, v11
	v_sub_f16_e32 v10, v12, v10
	v_fma_f16 v11, v9, 2.0, -v14
	v_fma_f16 v15, v12, 2.0, -v10
	v_sub_f16_e32 v7, v13, v21
	v_fma_f16 v13, v13, 2.0, -v7
	v_lshl_add_u32 v31, v8, 2, 0
	v_pack_b32_f16 v6, v11, v14
	v_pack_b32_f16 v21, v15, v10
	ds_write2_b32 v31, v6, v21 offset1:182
	v_pack_b32_f16 v6, v13, v7
	v_sub_f16_e32 v12, v24, v25
	ds_write_b32 v31, v6 offset:1456
	v_add_u32_e32 v6, 0x222, v8
	s_movk_i32 s2, 0x5b
	v_fma_f16 v9, v24, 2.0, -v12
	v_lshlrev_b32_e32 v0, 1, v8
	v_cmp_gt_u32_e64 s[2:3], s2, v8
	v_lshl_add_u32 v30, v6, 2, 0
	s_and_saveexec_b64 s[6:7], s[2:3]
	s_cbranch_execz .LBB0_17
; %bb.16:
	s_mov_b32 s8, 0x5040100
	v_perm_b32 v6, v12, v9, s8
	ds_write_b32 v30, v6
.LBB0_17:
	s_or_b64 exec, exec, s[6:7]
	s_movk_i32 s6, 0x62
	v_add_u32_e32 v33, 0x2d8, v31
	v_add_u32_e32 v32, 0x5b0, v31
	v_cmp_gt_u32_e32 vcc, s6, v8
	v_sub_u32_e32 v0, v31, v0
	s_waitcnt lgkmcnt(0)
	s_barrier
	s_waitcnt lgkmcnt(0)
                                        ; implicit-def: $vgpr21
                                        ; implicit-def: $vgpr29
                                        ; implicit-def: $vgpr28
                                        ; implicit-def: $vgpr24
                                        ; implicit-def: $vgpr25
	s_and_saveexec_b64 s[6:7], vcc
	s_cbranch_execz .LBB0_19
; %bb.18:
	ds_read_u16 v11, v0
	ds_read_u16 v14, v0 offset:196
	ds_read_u16 v15, v0 offset:392
	;; [unrolled: 1-line block ×12, first 2 shown]
.LBB0_19:
	s_or_b64 exec, exec, s[6:7]
	v_sub_f16_e32 v27, v18, v19
	v_fma_f16 v6, v18, 2.0, -v27
	v_sub_f16_e32 v36, v20, v22
	v_fma_f16 v19, v20, 2.0, -v36
	v_sub_f16_e32 v35, v23, v26
	v_sub_f16_e32 v34, v16, v17
	v_pack_b32_f16 v17, v6, v27
	v_fma_f16 v18, v23, 2.0, -v35
	s_waitcnt lgkmcnt(0)
	s_barrier
	ds_write_b32 v31, v17
	v_pack_b32_f16 v17, v19, v36
	v_fma_f16 v16, v16, 2.0, -v34
	ds_write_b32 v33, v17
	v_pack_b32_f16 v17, v18, v35
	ds_write_b32 v32, v17
	s_and_saveexec_b64 s[6:7], s[2:3]
	s_cbranch_execz .LBB0_21
; %bb.20:
	s_mov_b32 s2, 0x5040100
	v_perm_b32 v17, v34, v16, s2
	ds_write_b32 v30, v17
.LBB0_21:
	s_or_b64 exec, exec, s[6:7]
	s_waitcnt lgkmcnt(0)
	s_barrier
	s_waitcnt lgkmcnt(0)
                                        ; implicit-def: $vgpr33
                                        ; implicit-def: $vgpr32
                                        ; implicit-def: $vgpr30
                                        ; implicit-def: $vgpr31
                                        ; implicit-def: $vgpr37
	s_and_saveexec_b64 s[2:3], vcc
	s_cbranch_execz .LBB0_23
; %bb.22:
	ds_read_u16 v6, v0
	ds_read_u16 v27, v0 offset:196
	ds_read_u16 v19, v0 offset:392
	;; [unrolled: 1-line block ×12, first 2 shown]
.LBB0_23:
	s_or_b64 exec, exec, s[2:3]
	v_and_b32_e32 v0, 1, v8
	v_mul_u32_u24_e32 v17, 12, v0
	v_lshlrev_b32_e32 v46, 2, v17
	global_load_dwordx4 v[38:41], v46, s[12:13]
	global_load_dwordx4 v[42:45], v46, s[12:13] offset:16
	s_waitcnt vmcnt(1) lgkmcnt(11)
	v_mul_f16_sdwa v17, v27, v38 dst_sel:DWORD dst_unused:UNUSED_PAD src0_sel:DWORD src1_sel:WORD_1
	v_fma_f16 v26, v14, v38, v17
	v_mul_f16_sdwa v14, v14, v38 dst_sel:DWORD dst_unused:UNUSED_PAD src0_sel:DWORD src1_sel:WORD_1
	v_fma_f16 v27, v27, v38, -v14
	s_waitcnt lgkmcnt(10)
	v_mul_f16_sdwa v14, v19, v39 dst_sel:DWORD dst_unused:UNUSED_PAD src0_sel:DWORD src1_sel:WORD_1
	v_fma_f16 v22, v15, v39, v14
	v_mul_f16_sdwa v14, v15, v39 dst_sel:DWORD dst_unused:UNUSED_PAD src0_sel:DWORD src1_sel:WORD_1
	v_fma_f16 v23, v19, v39, -v14
	s_waitcnt lgkmcnt(9)
	;; [unrolled: 5-line block ×3, first 2 shown]
	v_mul_f16_sdwa v10, v18, v41 dst_sel:DWORD dst_unused:UNUSED_PAD src0_sel:DWORD src1_sel:WORD_1
	v_fma_f16 v17, v13, v41, v10
	v_mul_f16_sdwa v10, v13, v41 dst_sel:DWORD dst_unused:UNUSED_PAD src0_sel:DWORD src1_sel:WORD_1
	v_fma_f16 v18, v18, v41, -v10
	s_waitcnt vmcnt(0) lgkmcnt(7)
	v_mul_f16_sdwa v10, v35, v42 dst_sel:DWORD dst_unused:UNUSED_PAD src0_sel:DWORD src1_sel:WORD_1
	v_fma_f16 v13, v7, v42, v10
	v_mul_f16_sdwa v7, v7, v42 dst_sel:DWORD dst_unused:UNUSED_PAD src0_sel:DWORD src1_sel:WORD_1
	v_fma_f16 v14, v35, v42, -v7
	s_waitcnt lgkmcnt(6)
	v_mul_f16_sdwa v7, v16, v43 dst_sel:DWORD dst_unused:UNUSED_PAD src0_sel:DWORD src1_sel:WORD_1
	v_fma_f16 v7, v9, v43, v7
	v_mul_f16_sdwa v9, v9, v43 dst_sel:DWORD dst_unused:UNUSED_PAD src0_sel:DWORD src1_sel:WORD_1
	s_waitcnt lgkmcnt(5)
	v_mul_f16_sdwa v10, v34, v44 dst_sel:DWORD dst_unused:UNUSED_PAD src0_sel:DWORD src1_sel:WORD_1
	v_fma_f16 v9, v16, v43, -v9
	v_fma_f16 v10, v12, v44, v10
	v_mul_f16_sdwa v12, v12, v44 dst_sel:DWORD dst_unused:UNUSED_PAD src0_sel:DWORD src1_sel:WORD_1
	v_mul_f16_sdwa v16, v25, v45 dst_sel:DWORD dst_unused:UNUSED_PAD src0_sel:DWORD src1_sel:WORD_1
	v_fma_f16 v12, v34, v44, -v12
	s_waitcnt lgkmcnt(4)
	v_mul_f16_sdwa v15, v37, v45 dst_sel:DWORD dst_unused:UNUSED_PAD src0_sel:DWORD src1_sel:WORD_1
	v_fma_f16 v16, v37, v45, -v16
	global_load_dwordx4 v[34:37], v46, s[12:13] offset:32
	v_fma_f16 v15, v25, v45, v15
	s_waitcnt vmcnt(0) lgkmcnt(0)
	s_barrier
	v_mul_f16_sdwa v25, v31, v34 dst_sel:DWORD dst_unused:UNUSED_PAD src0_sel:DWORD src1_sel:WORD_1
	v_mul_f16_sdwa v38, v24, v34 dst_sel:DWORD dst_unused:UNUSED_PAD src0_sel:DWORD src1_sel:WORD_1
	v_fma_f16 v24, v24, v34, v25
	v_mul_f16_sdwa v39, v30, v35 dst_sel:DWORD dst_unused:UNUSED_PAD src0_sel:DWORD src1_sel:WORD_1
	v_fma_f16 v25, v31, v34, -v38
	v_mul_f16_sdwa v31, v28, v35 dst_sel:DWORD dst_unused:UNUSED_PAD src0_sel:DWORD src1_sel:WORD_1
	v_mul_f16_sdwa v34, v32, v36 dst_sel:DWORD dst_unused:UNUSED_PAD src0_sel:DWORD src1_sel:WORD_1
	v_fma_f16 v28, v28, v35, v39
	v_fma_f16 v30, v30, v35, -v31
	v_mul_f16_sdwa v35, v29, v36 dst_sel:DWORD dst_unused:UNUSED_PAD src0_sel:DWORD src1_sel:WORD_1
	v_fma_f16 v31, v29, v36, v34
	v_mul_f16_sdwa v29, v33, v37 dst_sel:DWORD dst_unused:UNUSED_PAD src0_sel:DWORD src1_sel:WORD_1
	v_mul_f16_sdwa v34, v21, v37 dst_sel:DWORD dst_unused:UNUSED_PAD src0_sel:DWORD src1_sel:WORD_1
	v_fma_f16 v32, v32, v36, -v35
	v_fma_f16 v39, v21, v37, v29
	v_fma_f16 v40, v33, v37, -v34
	v_lshrrev_b32_e32 v21, 1, v8
	s_and_saveexec_b64 s[2:3], vcc
	s_cbranch_execz .LBB0_25
; %bb.24:
	v_sub_f16_e32 v33, v27, v40
	v_add_f16_e32 v29, v26, v39
	v_mul_f16_e32 v34, 0xb3a8, v33
	s_mov_b32 s6, 0xbbc4
	v_sub_f16_e32 v37, v23, v32
	v_fma_f16 v35, v29, s6, -v34
	v_add_f16_e32 v36, v22, v31
	v_mul_f16_e32 v38, 0x3770, v37
	s_movk_i32 s8, 0x3b15
	v_add_f16_e32 v35, v11, v35
	v_fma_f16 v41, v36, s8, -v38
	v_sub_f16_e32 v42, v20, v30
	v_add_f16_e32 v35, v41, v35
	v_add_f16_e32 v41, v19, v28
	v_mul_f16_e32 v43, 0xb94e, v42
	s_mov_b32 s7, 0xb9fd
	v_fma_f16 v44, v41, s7, -v43
	v_sub_f16_e32 v45, v18, v25
	v_add_f16_e32 v35, v44, v35
	s_movk_i32 s9, 0x388b
	v_add_f16_e32 v44, v17, v24
	v_mul_f16_e32 v46, 0x3a95, v45
	v_fma_f16 v34, v29, s6, v34
	v_fma_f16 v47, v44, s9, -v46
	v_sub_f16_e32 v48, v14, v16
	v_add_f16_e32 v34, v11, v34
	v_fma_f16 v38, v36, s8, v38
	v_add_f16_e32 v35, v47, v35
	s_mov_b32 s14, 0xb5ac
	v_add_f16_e32 v47, v13, v15
	v_mul_f16_e32 v49, 0xbb7b, v48
	v_add_f16_e32 v34, v38, v34
	v_fma_f16 v38, v41, s7, v43
	v_fma_f16 v50, v47, s14, -v49
	v_sub_f16_e32 v51, v9, v12
	v_add_f16_e32 v34, v38, v34
	v_fma_f16 v38, v44, s9, v46
	v_add_f16_e32 v35, v50, v35
	s_movk_i32 s15, 0x2fb7
	v_add_f16_e32 v50, v7, v10
	v_mul_f16_e32 v52, 0x3bf1, v51
	v_add_f16_e32 v34, v38, v34
	v_fma_f16 v38, v47, s14, v49
	v_add_f16_e32 v34, v38, v34
	v_fma_f16 v38, v50, s15, v52
	v_add_f16_e32 v34, v38, v34
	v_mul_f16_e32 v38, 0xb94e, v33
	v_fma_f16 v43, v29, s7, -v38
	v_mul_f16_e32 v46, 0x3bf1, v37
	v_add_f16_e32 v43, v11, v43
	v_fma_f16 v49, v36, s15, -v46
	v_add_f16_e32 v43, v49, v43
	v_mul_f16_e32 v49, 0xba95, v42
	v_fma_f16 v53, v50, s15, -v52
	v_fma_f16 v52, v41, s9, -v49
	v_add_f16_e32 v43, v52, v43
	v_mul_f16_e32 v52, 0x33a8, v45
	v_fma_f16 v38, v29, s7, v38
	v_add_f16_e32 v35, v53, v35
	v_fma_f16 v53, v44, s6, -v52
	v_add_f16_e32 v38, v11, v38
	v_fma_f16 v46, v36, s15, v46
	v_add_f16_e32 v43, v53, v43
	v_mul_f16_e32 v53, 0x3770, v48
	v_add_f16_e32 v38, v46, v38
	v_fma_f16 v46, v41, s9, v49
	v_fma_f16 v54, v47, s8, -v53
	v_add_f16_e32 v38, v46, v38
	v_fma_f16 v46, v44, s6, v52
	v_add_f16_e32 v43, v54, v43
	v_mul_f16_e32 v54, 0xbb7b, v51
	v_add_f16_e32 v38, v46, v38
	v_fma_f16 v46, v47, s8, v53
	v_add_f16_e32 v38, v46, v38
	v_fma_f16 v46, v50, s14, v54
	v_add_f16_e32 v38, v46, v38
	v_mul_f16_e32 v46, 0xbb7b, v33
	v_fma_f16 v49, v29, s14, -v46
	v_mul_f16_e32 v52, 0x394e, v37
	v_add_f16_e32 v49, v11, v49
	v_fma_f16 v53, v36, s7, -v52
	v_add_f16_e32 v49, v53, v49
	v_mul_f16_e32 v53, 0x3770, v42
	v_fma_f16 v55, v50, s14, -v54
	v_fma_f16 v54, v41, s8, -v53
	v_add_f16_e32 v49, v54, v49
	v_mul_f16_e32 v54, 0xbbf1, v45
	v_fma_f16 v46, v29, s14, v46
	v_add_f16_e32 v43, v55, v43
	v_fma_f16 v55, v44, s15, -v54
	v_add_f16_e32 v46, v11, v46
	v_fma_f16 v52, v36, s7, v52
	v_add_f16_e32 v49, v55, v49
	v_mul_f16_e32 v55, 0x33a8, v48
	v_add_f16_e32 v46, v52, v46
	v_fma_f16 v52, v41, s8, v53
	v_fma_f16 v56, v47, s6, -v55
	v_add_f16_e32 v46, v52, v46
	v_fma_f16 v52, v44, s15, v54
	;; [unrolled: 30-line block ×4, first 2 shown]
	v_add_f16_e32 v55, v60, v55
	v_mul_f16_e32 v60, 0x3770, v51
	v_add_f16_e32 v54, v56, v54
	v_fma_f16 v56, v47, s15, v59
	v_add_f16_e32 v54, v56, v54
	v_fma_f16 v56, v50, s8, v60
	v_mul_f16_e32 v33, 0xb770, v33
	v_add_f16_e32 v54, v56, v54
	v_fma_f16 v56, v29, s8, -v33
	v_fma_f16 v29, v29, s8, v33
	v_add_f16_e32 v56, v11, v56
	v_add_f16_e32 v29, v11, v29
	;; [unrolled: 1-line block ×5, first 2 shown]
	v_mul_f16_e32 v37, 0xba95, v37
	v_add_f16_e32 v11, v11, v17
	v_mul_f16_e32 v42, 0xbbf1, v42
	v_fma_f16 v33, v36, s9, v37
	v_add_f16_e32 v11, v11, v13
	v_mul_f16_e32 v45, 0xbb7b, v45
	v_add_f16_e32 v29, v33, v29
	v_fma_f16 v33, v41, s15, v42
	v_add_f16_e32 v11, v11, v7
	v_mul_f16_e32 v48, 0xb94e, v48
	v_add_f16_e32 v29, v33, v29
	v_fma_f16 v33, v44, s14, v45
	v_add_f16_e32 v11, v11, v10
	v_fma_f16 v57, v36, s9, -v37
	v_mul_f16_e32 v51, 0xb3a8, v51
	v_add_f16_e32 v29, v33, v29
	v_fma_f16 v33, v47, s7, v48
	v_add_f16_e32 v11, v11, v15
	v_add_f16_e32 v56, v57, v56
	v_fma_f16 v57, v41, s15, -v42
	v_add_f16_e32 v29, v33, v29
	v_fma_f16 v33, v50, s6, v51
	v_add_f16_e32 v11, v11, v24
	v_add_f16_e32 v56, v57, v56
	v_fma_f16 v57, v44, s14, -v45
	v_add_f16_e32 v29, v33, v29
	v_add_f16_e32 v11, v11, v28
	v_mul_u32_u24_e32 v33, 26, v21
	v_add_f16_e32 v56, v57, v56
	v_fma_f16 v57, v47, s7, -v48
	v_add_f16_e32 v11, v11, v31
	v_or_b32_e32 v33, v33, v0
	v_fma_f16 v61, v50, s8, -v60
	v_add_f16_e32 v56, v57, v56
	v_fma_f16 v57, v50, s6, -v51
	v_add_f16_e32 v11, v11, v39
	v_lshl_add_u32 v33, v33, 1, 0
	v_add_f16_e32 v55, v61, v55
	v_add_f16_e32 v56, v57, v56
	ds_write_b16 v33, v11
	ds_write_b16 v33, v29 offset:4
	ds_write_b16 v33, v54 offset:8
	;; [unrolled: 1-line block ×12, first 2 shown]
.LBB0_25:
	s_or_b64 exec, exec, s[2:3]
	v_lshl_add_u32 v11, v8, 1, 0
	s_waitcnt lgkmcnt(0)
	s_barrier
	ds_read_u16 v29, v11
	ds_read_u16 v38, v11 offset:364
	ds_read_u16 v37, v11 offset:728
	;; [unrolled: 1-line block ×6, first 2 shown]
	s_waitcnt lgkmcnt(0)
	s_barrier
	s_and_saveexec_b64 s[2:3], vcc
	s_cbranch_execz .LBB0_27
; %bb.26:
	v_add_f16_e32 v41, v6, v27
	v_add_f16_e32 v41, v41, v23
	v_add_f16_e32 v41, v41, v20
	v_add_f16_e32 v41, v41, v18
	v_add_f16_e32 v41, v41, v14
	v_add_f16_e32 v41, v41, v9
	v_add_f16_e32 v41, v41, v12
	v_add_f16_e32 v41, v41, v16
	v_add_f16_e32 v41, v41, v25
	v_add_f16_e32 v41, v41, v30
	v_add_f16_e32 v27, v27, v40
	v_add_f16_e32 v41, v41, v32
	v_sub_f16_e32 v26, v26, v39
	v_mul_f16_e32 v39, 0x3b15, v27
	s_movk_i32 s6, 0x3770
	s_mov_b32 s7, 0xb770
	v_mul_f16_e32 v42, 0x388b, v27
	s_movk_i32 s8, 0x3a95
	s_mov_b32 s9, 0xba95
	;; [unrolled: 3-line block ×6, first 2 shown]
	v_add_f16_e32 v41, v41, v40
	v_fma_f16 v40, v26, s6, v39
	v_fma_f16 v39, v26, s7, v39
	v_fma_f16 v43, v26, s8, v42
	v_fma_f16 v42, v26, s9, v42
	v_fma_f16 v45, v26, s14, v44
	v_fma_f16 v44, v26, s15, v44
	v_fma_f16 v47, v26, s16, v46
	v_fma_f16 v46, v26, s17, v46
	v_fma_f16 v49, v26, s18, v48
	v_fma_f16 v48, v26, s19, v48
	v_fma_f16 v50, v26, s20, v27
	v_fma_f16 v26, v26, s21, v27
	v_add_f16_e32 v23, v23, v32
	v_add_f16_e32 v40, v6, v40
	;; [unrolled: 1-line block ×13, first 2 shown]
	v_sub_f16_e32 v22, v22, v31
	v_mul_f16_e32 v26, 0x388b, v23
	v_fma_f16 v27, v22, s8, v26
	v_fma_f16 v26, v22, s9, v26
	v_mul_f16_e32 v31, 0xb5ac, v23
	v_add_f16_e32 v26, v26, v39
	v_fma_f16 v32, v22, s16, v31
	v_fma_f16 v31, v22, s17, v31
	v_mul_f16_e32 v39, 0xbbc4, v23
	v_add_f16_e32 v27, v27, v40
	v_add_f16_e32 v31, v31, v42
	v_fma_f16 v40, v22, s20, v39
	v_fma_f16 v39, v22, s21, v39
	v_mul_f16_e32 v42, 0xb9fd, v23
	v_add_f16_e32 v32, v32, v43
	v_add_f16_e32 v39, v39, v44
	v_fma_f16 v43, v22, s19, v42
	v_fma_f16 v42, v22, s18, v42
	v_mul_f16_e32 v44, 0x2fb7, v23
	v_mul_f16_e32 v23, 0x3b15, v23
	v_add_f16_e32 v40, v40, v45
	v_add_f16_e32 v42, v42, v46
	v_fma_f16 v45, v22, s15, v44
	v_fma_f16 v44, v22, s14, v44
	;; [unrolled: 1-line block ×4, first 2 shown]
	v_add_f16_e32 v20, v20, v30
	v_add_f16_e32 v6, v22, v6
	v_sub_f16_e32 v19, v19, v28
	v_mul_f16_e32 v22, 0x2fb7, v20
	v_fma_f16 v23, v19, s14, v22
	v_fma_f16 v22, v19, s15, v22
	v_add_f16_e32 v22, v22, v26
	v_mul_f16_e32 v26, 0xbbc4, v20
	v_add_f16_e32 v23, v23, v27
	v_fma_f16 v27, v19, s20, v26
	v_fma_f16 v26, v19, s21, v26
	v_mul_f16_e32 v28, 0xb5ac, v20
	v_add_f16_e32 v26, v26, v31
	v_fma_f16 v30, v19, s17, v28
	v_fma_f16 v28, v19, s16, v28
	v_mul_f16_e32 v31, 0x3b15, v20
	v_add_f16_e32 v27, v27, v32
	v_add_f16_e32 v28, v28, v39
	v_fma_f16 v32, v19, s7, v31
	v_fma_f16 v31, v19, s6, v31
	v_mul_f16_e32 v39, 0x388b, v20
	v_mul_f16_e32 v20, 0xb9fd, v20
	v_add_f16_e32 v30, v30, v40
	v_add_f16_e32 v31, v31, v42
	v_fma_f16 v40, v19, s8, v39
	v_fma_f16 v39, v19, s9, v39
	;; [unrolled: 1-line block ×4, first 2 shown]
	v_add_f16_e32 v18, v18, v25
	v_add_f16_e32 v6, v19, v6
	v_sub_f16_e32 v17, v17, v24
	v_mul_f16_e32 v19, 0xb5ac, v18
	v_fma_f16 v20, v17, s16, v19
	v_fma_f16 v19, v17, s17, v19
	v_add_f16_e32 v19, v19, v22
	v_mul_f16_e32 v22, 0xb9fd, v18
	v_add_f16_e32 v20, v20, v23
	v_fma_f16 v23, v17, s19, v22
	v_fma_f16 v22, v17, s18, v22
	v_mul_f16_e32 v24, 0x3b15, v18
	v_add_f16_e32 v22, v22, v26
	v_fma_f16 v25, v17, s7, v24
	v_fma_f16 v24, v17, s6, v24
	v_mul_f16_e32 v26, 0x2fb7, v18
	v_add_f16_e32 v23, v23, v27
	v_add_f16_e32 v24, v24, v28
	v_fma_f16 v27, v17, s14, v26
	v_fma_f16 v26, v17, s15, v26
	v_mul_f16_e32 v28, 0xbbc4, v18
	v_mul_f16_e32 v18, 0x388b, v18
	v_add_f16_e32 v14, v14, v16
	v_add_f16_e32 v25, v25, v30
	;; [unrolled: 1-line block ×3, first 2 shown]
	v_fma_f16 v30, v17, s21, v28
	v_fma_f16 v28, v17, s20, v28
	;; [unrolled: 1-line block ×4, first 2 shown]
	v_sub_f16_e32 v13, v13, v15
	v_mul_f16_e32 v15, 0xb9fd, v14
	v_add_f16_e32 v6, v17, v6
	v_fma_f16 v16, v13, s18, v15
	v_fma_f16 v15, v13, s19, v15
	v_mul_f16_e32 v17, 0x2fb7, v14
	v_add_f16_e32 v15, v15, v19
	v_fma_f16 v18, v13, s15, v17
	v_fma_f16 v17, v13, s14, v17
	v_mul_f16_e32 v19, 0x388b, v14
	v_add_f16_e32 v16, v16, v20
	v_add_f16_e32 v17, v17, v22
	v_fma_f16 v20, v13, s8, v19
	v_fma_f16 v19, v13, s9, v19
	v_mul_f16_e32 v22, 0xbbc4, v14
	v_add_f16_e32 v18, v18, v23
	v_add_f16_e32 v19, v19, v24
	v_fma_f16 v23, v13, s21, v22
	v_fma_f16 v22, v13, s20, v22
	v_mul_f16_e32 v24, 0x3b15, v14
	v_mul_f16_e32 v14, 0xb5ac, v14
	v_add_f16_e32 v9, v9, v12
	v_add_f16_e32 v20, v20, v25
	;; [unrolled: 1-line block ×3, first 2 shown]
	v_fma_f16 v25, v13, s7, v24
	v_fma_f16 v24, v13, s6, v24
	;; [unrolled: 1-line block ×4, first 2 shown]
	v_sub_f16_e32 v7, v7, v10
	v_mul_f16_e32 v10, 0xbbc4, v9
	v_add_f16_e32 v6, v13, v6
	v_fma_f16 v12, v7, s20, v10
	v_fma_f16 v10, v7, s21, v10
	v_mul_f16_e32 v13, 0x3b15, v9
	v_add_f16_e32 v10, v10, v15
	v_fma_f16 v14, v7, s7, v13
	v_fma_f16 v13, v7, s6, v13
	v_mul_f16_e32 v15, 0xb9fd, v9
	v_add_f16_e32 v12, v12, v16
	v_add_f16_e32 v13, v13, v17
	v_fma_f16 v16, v7, s18, v15
	v_fma_f16 v15, v7, s19, v15
	v_mul_f16_e32 v17, 0x388b, v9
	v_add_f16_e32 v14, v14, v18
	v_add_f16_e32 v15, v15, v19
	v_fma_f16 v18, v7, s9, v17
	v_fma_f16 v17, v7, s8, v17
	v_mul_f16_e32 v19, 0xb5ac, v9
	v_mul_f16_e32 v9, 0x2fb7, v9
	v_add_f16_e32 v43, v43, v47
	v_add_f16_e32 v45, v45, v49
	;; [unrolled: 1-line block ×6, first 2 shown]
	v_fma_f16 v20, v7, s16, v19
	v_fma_f16 v19, v7, s17, v19
	;; [unrolled: 1-line block ×4, first 2 shown]
	v_add_f16_e32 v32, v32, v43
	v_add_f16_e32 v40, v40, v45
	;; [unrolled: 1-line block ×5, first 2 shown]
	v_mul_u32_u24_e32 v7, 26, v21
	v_add_f16_e32 v27, v27, v32
	v_add_f16_e32 v30, v30, v40
	;; [unrolled: 1-line block ×4, first 2 shown]
	v_or_b32_e32 v0, v7, v0
	v_add_f16_e32 v23, v23, v27
	v_add_f16_e32 v25, v25, v30
	;; [unrolled: 1-line block ×4, first 2 shown]
	v_lshl_add_u32 v0, v0, 1, 0
	v_add_f16_e32 v18, v18, v23
	v_add_f16_e32 v20, v20, v25
	;; [unrolled: 1-line block ×4, first 2 shown]
	ds_write_b16 v0, v41
	ds_write_b16 v0, v12 offset:4
	ds_write_b16 v0, v14 offset:8
	;; [unrolled: 1-line block ×12, first 2 shown]
.LBB0_27:
	s_or_b64 exec, exec, s[2:3]
	s_movk_i32 s2, 0x4f
	v_mul_lo_u16_sdwa v0, v8, s2 dst_sel:DWORD dst_unused:UNUSED_PAD src0_sel:BYTE_0 src1_sel:DWORD
	v_lshrrev_b16_e32 v0, 11, v0
	v_mul_lo_u16_e32 v6, 26, v0
	v_sub_u16_e32 v9, v8, v6
	v_mov_b32_e32 v6, 6
	v_mul_u32_u24_sdwa v6, v9, v6 dst_sel:DWORD dst_unused:UNUSED_PAD src0_sel:BYTE_0 src1_sel:DWORD
	v_lshlrev_b32_e32 v10, 2, v6
	s_waitcnt lgkmcnt(0)
	s_barrier
	global_load_dwordx4 v[12:15], v10, s[12:13] offset:96
	global_load_dwordx2 v[6:7], v10, s[12:13] offset:112
	ds_read_u16 v10, v11
	ds_read_u16 v16, v11 offset:364
	ds_read_u16 v17, v11 offset:728
	;; [unrolled: 1-line block ×6, first 2 shown]
	s_movk_i32 s7, 0x2b26
	s_mov_b32 s6, 0xbcab
	s_mov_b32 s8, 0xb9e0
	;; [unrolled: 1-line block ×3, first 2 shown]
	s_movk_i32 s9, 0x3574
	s_mov_b32 s2, 0xbb00
	s_mov_b32 s14, 0xb70e
	v_mul_u32_u24_e32 v0, 0x16c, v0
	s_waitcnt vmcnt(0) lgkmcnt(0)
	s_barrier
	s_movk_i32 s3, 0x3a52
	v_mul_f16_sdwa v22, v16, v12 dst_sel:DWORD dst_unused:UNUSED_PAD src0_sel:DWORD src1_sel:WORD_1
	v_mul_f16_sdwa v23, v38, v12 dst_sel:DWORD dst_unused:UNUSED_PAD src0_sel:DWORD src1_sel:WORD_1
	;; [unrolled: 1-line block ×12, first 2 shown]
	v_fma_f16 v22, v38, v12, v22
	v_fma_f16 v12, v16, v12, -v23
	v_fma_f16 v16, v37, v13, v24
	v_fma_f16 v13, v17, v13, -v25
	;; [unrolled: 2-line block ×6, first 2 shown]
	v_add_f16_e32 v21, v22, v20
	v_add_f16_e32 v23, v12, v7
	v_sub_f16_e32 v20, v22, v20
	v_sub_f16_e32 v7, v12, v7
	v_add_f16_e32 v12, v16, v19
	v_add_f16_e32 v22, v13, v6
	v_sub_f16_e32 v16, v16, v19
	v_sub_f16_e32 v6, v13, v6
	;; [unrolled: 4-line block ×4, first 2 shown]
	v_sub_f16_e32 v21, v21, v13
	v_sub_f16_e32 v23, v23, v19
	v_add_f16_e32 v26, v17, v16
	v_sub_f16_e32 v12, v13, v12
	v_sub_f16_e32 v22, v19, v22
	;; [unrolled: 1-line block ×5, first 2 shown]
	v_add_f16_e32 v13, v13, v15
	v_add_f16_e32 v15, v19, v18
	;; [unrolled: 1-line block ×3, first 2 shown]
	v_mul_f16_e32 v19, 0x3a52, v21
	v_mul_f16_e32 v20, 0x3a52, v23
	v_add_f16_e32 v27, v14, v6
	v_sub_f16_e32 v30, v14, v6
	v_mul_f16_e32 v21, 0x2b26, v12
	v_mul_f16_e32 v23, 0x2b26, v22
	;; [unrolled: 1-line block ×4, first 2 shown]
	v_add_f16_e32 v29, v29, v13
	v_add_f16_e32 v31, v10, v15
	v_fma_f16 v10, v12, s7, v19
	v_fma_f16 v12, v22, s7, v20
	s_movk_i32 s7, 0x39e0
	v_sub_f16_e32 v14, v7, v14
	v_sub_f16_e32 v6, v6, v7
	v_add_f16_e32 v7, v27, v7
	v_mul_f16_e32 v27, 0x3846, v30
	v_fma_f16 v13, v13, s6, v29
	v_fma_f16 v15, v15, s6, v31
	v_fma_f16 v21, v24, s7, -v21
	v_fma_f16 v22, v25, s7, -v23
	;; [unrolled: 1-line block ×4, first 2 shown]
	v_fma_f16 v23, v17, s15, v26
	v_fma_f16 v17, v17, s9, -v28
	v_mul_f16_e32 v30, 0xbb00, v6
	v_fma_f16 v24, v14, s15, v27
	v_fma_f16 v16, v16, s2, -v26
	v_add_f16_e32 v10, v10, v13
	v_add_f16_e32 v12, v12, v15
	;; [unrolled: 1-line block ×6, first 2 shown]
	v_fma_f16 v19, v18, s14, v23
	v_fma_f16 v17, v18, s14, v17
	v_fma_f16 v6, v6, s2, -v27
	v_fma_f16 v14, v14, s9, -v30
	v_fma_f16 v20, v7, s14, v24
	v_fma_f16 v16, v18, s14, v16
	v_sub_f16_e32 v18, v12, v19
	v_sub_f16_e32 v24, v15, v17
	v_add_f16_e32 v15, v17, v15
	v_add_f16_e32 v17, v19, v12
	v_mov_b32_e32 v12, 1
	v_fma_f16 v6, v7, s14, v6
	v_fma_f16 v7, v7, s14, v14
	v_lshlrev_b32_sdwa v9, v12, v9 dst_sel:DWORD dst_unused:UNUSED_PAD src0_sel:DWORD src1_sel:BYTE_0
	v_add_f16_e32 v14, v20, v10
	v_add_f16_e32 v23, v7, v13
	v_sub_f16_e32 v25, v21, v6
	v_add_f16_e32 v6, v6, v21
	v_sub_f16_e32 v7, v13, v7
	v_sub_f16_e32 v10, v10, v20
	v_add3_u32 v19, 0, v0, v9
	ds_write_b16 v19, v29
	ds_write_b16 v19, v14 offset:52
	ds_write_b16 v19, v23 offset:104
	;; [unrolled: 1-line block ×6, first 2 shown]
	s_waitcnt lgkmcnt(0)
	s_barrier
	ds_read_u16 v0, v11
	ds_read_u16 v7, v11 offset:364
	ds_read_u16 v6, v11 offset:728
	;; [unrolled: 1-line block ×6, first 2 shown]
	v_add_f16_e32 v26, v16, v22
	v_sub_f16_e32 v16, v22, v16
	s_waitcnt lgkmcnt(0)
	s_barrier
	ds_write_b16 v19, v31
	ds_write_b16 v19, v18 offset:52
	ds_write_b16 v19, v24 offset:104
	ds_write_b16 v19, v26 offset:156
	ds_write_b16 v19, v16 offset:208
	ds_write_b16 v19, v15 offset:260
	ds_write_b16 v19, v17 offset:312
	s_waitcnt lgkmcnt(0)
	s_barrier
	s_and_saveexec_b64 s[16:17], s[0:1]
	s_cbranch_execz .LBB0_29
; %bb.28:
	v_mul_u32_u24_e32 v8, 6, v8
	v_lshlrev_b32_e32 v8, 2, v8
	global_load_dwordx4 v[14:17], v8, s[12:13] offset:720
	global_load_dwordx2 v[18:19], v8, s[12:13] offset:736
	v_mul_lo_u32 v8, s5, v3
	v_mul_lo_u32 v20, s4, v4
	v_mad_u64_u32 v[3:4], s[0:1], s4, v3, 0
	ds_read_u16 v21, v11 offset:2184
	ds_read_u16 v22, v11 offset:1820
	;; [unrolled: 1-line block ×6, first 2 shown]
	ds_read_u16 v11, v11
	v_add3_u32 v4, v4, v20, v8
	v_lshlrev_b64 v[3:4], 2, v[3:4]
	v_add_co_u32_e32 v3, vcc, s10, v3
	s_waitcnt vmcnt(1)
	v_lshrrev_b32_e32 v8, 16, v14
	v_lshrrev_b32_e32 v20, 16, v15
	;; [unrolled: 1-line block ×4, first 2 shown]
	v_mul_f16_e32 v29, v7, v14
	s_waitcnt vmcnt(0)
	v_lshrrev_b32_e32 v30, 16, v18
	v_lshrrev_b32_e32 v31, 16, v19
	v_mul_f16_e32 v32, v13, v19
	v_mul_f16_e32 v33, v10, v17
	;; [unrolled: 1-line block ×5, first 2 shown]
	s_waitcnt lgkmcnt(1)
	v_fma_f16 v29, v26, v8, v29
	v_fma_f16 v32, v21, v31, v32
	;; [unrolled: 1-line block ×6, first 2 shown]
	v_mul_f16_e32 v13, v13, v31
	v_mul_f16_e32 v7, v7, v8
	;; [unrolled: 1-line block ×6, first 2 shown]
	v_sub_f16_e32 v12, v29, v32
	v_sub_f16_e32 v20, v33, v34
	v_sub_f16_e32 v27, v35, v36
	v_fma_f16 v13, v21, v19, -v13
	v_fma_f16 v7, v26, v14, -v7
	;; [unrolled: 1-line block ×6, first 2 shown]
	v_add_f16_e32 v14, v29, v32
	v_add_f16_e32 v15, v33, v34
	;; [unrolled: 1-line block ×3, first 2 shown]
	v_sub_f16_e32 v17, v12, v20
	v_sub_f16_e32 v18, v20, v27
	v_add_f16_e32 v19, v20, v27
	v_add_f16_e32 v20, v7, v13
	;; [unrolled: 1-line block ×4, first 2 shown]
	v_sub_f16_e32 v24, v15, v16
	v_add_f16_e32 v25, v14, v16
	v_sub_f16_e32 v8, v9, v8
	v_sub_f16_e32 v6, v6, v10
	;; [unrolled: 1-line block ×4, first 2 shown]
	v_mul_f16_e32 v9, 0x3846, v18
	v_add_f16_e32 v10, v12, v19
	v_add_f16_e32 v19, v20, v22
	v_mul_f16_e32 v24, 0x2b26, v24
	v_add_f16_e32 v15, v15, v25
	v_sub_f16_e32 v28, v8, v6
	v_sub_f16_e32 v13, v20, v21
	;; [unrolled: 1-line block ×3, first 2 shown]
	v_mul_f16_e32 v26, 0x3a52, v23
	v_sub_f16_e32 v25, v7, v8
	v_add_f16_e32 v8, v8, v6
	v_fma_f16 v29, v17, s15, v9
	v_add_f16_e32 v19, v21, v19
	v_fma_f16 v21, v23, s3, v24
	v_add_f16_e32 v23, v0, v15
	v_mul_f16_e32 v0, 0x3846, v28
	v_sub_f16_e32 v14, v16, v14
	v_sub_f16_e32 v6, v6, v7
	v_add_f16_e32 v8, v7, v8
	v_fma_f16 v28, v10, s14, v29
	v_fma_f16 v15, v15, s6, v23
	;; [unrolled: 1-line block ×3, first 2 shown]
	v_mul_f16_e32 v7, 0xbb00, v6
	v_fma_f16 v0, v6, s2, -v0
	v_fma_f16 v6, v14, s7, -v24
	v_sub_f16_e32 v12, v27, v12
	v_fma_f16 v7, v25, s9, -v7
	v_fma_f16 v0, v8, s14, v0
	v_add_f16_e32 v6, v6, v15
	v_fma_f16 v29, v8, s14, v29
	v_mul_f16_e32 v27, 0xbb00, v12
	v_fma_f16 v7, v8, s14, v7
	v_fma_f16 v9, v12, s2, -v9
	v_add_f16_e32 v8, v0, v6
	v_sub_f16_e32 v12, v6, v0
	v_mov_b32_e32 v0, s11
	v_addc_co_u32_e32 v4, vcc, v0, v4, vcc
	v_lshlrev_b64 v[0:1], 2, v[1:2]
	v_mov_b32_e32 v6, 0
	v_add_co_u32_e32 v2, vcc, v3, v0
	v_mul_f16_e32 v18, 0x2b26, v18
	s_waitcnt lgkmcnt(0)
	v_add_f16_e32 v11, v11, v19
	v_addc_co_u32_e32 v3, vcc, v4, v1, vcc
	v_lshlrev_b64 v[0:1], 2, v[5:6]
	v_mul_f16_e32 v30, 0x3a52, v13
	v_fma_f16 v13, v13, s3, v18
	v_fma_f16 v19, v19, s6, v11
	v_sub_f16_e32 v20, v22, v20
	v_add_f16_e32 v21, v21, v15
	v_add_f16_e32 v13, v13, v19
	v_fma_f16 v17, v17, s9, -v27
	v_fma_f16 v22, v20, s8, -v30
	;; [unrolled: 1-line block ×3, first 2 shown]
	v_add_co_u32_e32 v0, vcc, v2, v0
	v_add_f16_e32 v31, v28, v13
	v_fma_f16 v17, v10, s14, v17
	v_add_f16_e32 v22, v22, v19
	v_add_f16_e32 v16, v16, v15
	v_fma_f16 v18, v20, s7, -v18
	v_sub_f16_e32 v13, v13, v28
	v_add_f16_e32 v15, v29, v21
	v_addc_co_u32_e32 v1, vcc, v3, v1, vcc
	v_pack_b32_f16 v2, v23, v11
	v_sub_f16_e32 v25, v16, v7
	v_add_f16_e32 v18, v18, v19
	v_fma_f16 v9, v10, s14, v9
	v_sub_f16_e32 v14, v22, v17
	v_add_f16_e32 v7, v7, v16
	global_store_dword v[0:1], v2, off
	v_pack_b32_f16 v2, v15, v13
	v_sub_f16_e32 v10, v18, v9
	v_add_f16_e32 v9, v9, v18
	global_store_dword v[0:1], v2, off offset:728
	v_pack_b32_f16 v2, v7, v14
	global_store_dword v[0:1], v2, off offset:1456
	v_pack_b32_f16 v2, v12, v9
	v_add_f16_e32 v27, v17, v22
	global_store_dword v[0:1], v2, off offset:2184
	v_pack_b32_f16 v2, v8, v10
	global_store_dword v[0:1], v2, off offset:2912
	v_pack_b32_f16 v2, v25, v27
	v_sub_f16_e32 v32, v21, v29
	global_store_dword v[0:1], v2, off offset:3640
	v_add_co_u32_e32 v0, vcc, 0x1000, v0
	v_pack_b32_f16 v2, v32, v31
	v_addc_co_u32_e32 v1, vcc, 0, v1, vcc
	global_store_dword v[0:1], v2, off offset:272
.LBB0_29:
	s_endpgm
	.section	.rodata,"a",@progbits
	.p2align	6, 0x0
	.amdhsa_kernel fft_rtc_back_len1274_factors_2_13_7_7_wgs_182_tpt_182_halfLds_half_op_CI_CI_unitstride_sbrr_dirReg
		.amdhsa_group_segment_fixed_size 0
		.amdhsa_private_segment_fixed_size 0
		.amdhsa_kernarg_size 104
		.amdhsa_user_sgpr_count 6
		.amdhsa_user_sgpr_private_segment_buffer 1
		.amdhsa_user_sgpr_dispatch_ptr 0
		.amdhsa_user_sgpr_queue_ptr 0
		.amdhsa_user_sgpr_kernarg_segment_ptr 1
		.amdhsa_user_sgpr_dispatch_id 0
		.amdhsa_user_sgpr_flat_scratch_init 0
		.amdhsa_user_sgpr_private_segment_size 0
		.amdhsa_uses_dynamic_stack 0
		.amdhsa_system_sgpr_private_segment_wavefront_offset 0
		.amdhsa_system_sgpr_workgroup_id_x 1
		.amdhsa_system_sgpr_workgroup_id_y 0
		.amdhsa_system_sgpr_workgroup_id_z 0
		.amdhsa_system_sgpr_workgroup_info 0
		.amdhsa_system_vgpr_workitem_id 0
		.amdhsa_next_free_vgpr 62
		.amdhsa_next_free_sgpr 28
		.amdhsa_reserve_vcc 1
		.amdhsa_reserve_flat_scratch 0
		.amdhsa_float_round_mode_32 0
		.amdhsa_float_round_mode_16_64 0
		.amdhsa_float_denorm_mode_32 3
		.amdhsa_float_denorm_mode_16_64 3
		.amdhsa_dx10_clamp 1
		.amdhsa_ieee_mode 1
		.amdhsa_fp16_overflow 0
		.amdhsa_exception_fp_ieee_invalid_op 0
		.amdhsa_exception_fp_denorm_src 0
		.amdhsa_exception_fp_ieee_div_zero 0
		.amdhsa_exception_fp_ieee_overflow 0
		.amdhsa_exception_fp_ieee_underflow 0
		.amdhsa_exception_fp_ieee_inexact 0
		.amdhsa_exception_int_div_zero 0
	.end_amdhsa_kernel
	.text
.Lfunc_end0:
	.size	fft_rtc_back_len1274_factors_2_13_7_7_wgs_182_tpt_182_halfLds_half_op_CI_CI_unitstride_sbrr_dirReg, .Lfunc_end0-fft_rtc_back_len1274_factors_2_13_7_7_wgs_182_tpt_182_halfLds_half_op_CI_CI_unitstride_sbrr_dirReg
                                        ; -- End function
	.section	.AMDGPU.csdata,"",@progbits
; Kernel info:
; codeLenInByte = 7436
; NumSgprs: 32
; NumVgprs: 62
; ScratchSize: 0
; MemoryBound: 0
; FloatMode: 240
; IeeeMode: 1
; LDSByteSize: 0 bytes/workgroup (compile time only)
; SGPRBlocks: 3
; VGPRBlocks: 15
; NumSGPRsForWavesPerEU: 32
; NumVGPRsForWavesPerEU: 62
; Occupancy: 4
; WaveLimiterHint : 1
; COMPUTE_PGM_RSRC2:SCRATCH_EN: 0
; COMPUTE_PGM_RSRC2:USER_SGPR: 6
; COMPUTE_PGM_RSRC2:TRAP_HANDLER: 0
; COMPUTE_PGM_RSRC2:TGID_X_EN: 1
; COMPUTE_PGM_RSRC2:TGID_Y_EN: 0
; COMPUTE_PGM_RSRC2:TGID_Z_EN: 0
; COMPUTE_PGM_RSRC2:TIDIG_COMP_CNT: 0
	.type	__hip_cuid_761714084c593e63,@object ; @__hip_cuid_761714084c593e63
	.section	.bss,"aw",@nobits
	.globl	__hip_cuid_761714084c593e63
__hip_cuid_761714084c593e63:
	.byte	0                               ; 0x0
	.size	__hip_cuid_761714084c593e63, 1

	.ident	"AMD clang version 19.0.0git (https://github.com/RadeonOpenCompute/llvm-project roc-6.4.0 25133 c7fe45cf4b819c5991fe208aaa96edf142730f1d)"
	.section	".note.GNU-stack","",@progbits
	.addrsig
	.addrsig_sym __hip_cuid_761714084c593e63
	.amdgpu_metadata
---
amdhsa.kernels:
  - .args:
      - .actual_access:  read_only
        .address_space:  global
        .offset:         0
        .size:           8
        .value_kind:     global_buffer
      - .offset:         8
        .size:           8
        .value_kind:     by_value
      - .actual_access:  read_only
        .address_space:  global
        .offset:         16
        .size:           8
        .value_kind:     global_buffer
      - .actual_access:  read_only
        .address_space:  global
        .offset:         24
        .size:           8
        .value_kind:     global_buffer
      - .actual_access:  read_only
        .address_space:  global
        .offset:         32
        .size:           8
        .value_kind:     global_buffer
      - .offset:         40
        .size:           8
        .value_kind:     by_value
      - .actual_access:  read_only
        .address_space:  global
        .offset:         48
        .size:           8
        .value_kind:     global_buffer
      - .actual_access:  read_only
        .address_space:  global
        .offset:         56
        .size:           8
        .value_kind:     global_buffer
      - .offset:         64
        .size:           4
        .value_kind:     by_value
      - .actual_access:  read_only
        .address_space:  global
        .offset:         72
        .size:           8
        .value_kind:     global_buffer
      - .actual_access:  read_only
        .address_space:  global
        .offset:         80
        .size:           8
        .value_kind:     global_buffer
      - .actual_access:  read_only
        .address_space:  global
        .offset:         88
        .size:           8
        .value_kind:     global_buffer
      - .actual_access:  write_only
        .address_space:  global
        .offset:         96
        .size:           8
        .value_kind:     global_buffer
    .group_segment_fixed_size: 0
    .kernarg_segment_align: 8
    .kernarg_segment_size: 104
    .language:       OpenCL C
    .language_version:
      - 2
      - 0
    .max_flat_workgroup_size: 182
    .name:           fft_rtc_back_len1274_factors_2_13_7_7_wgs_182_tpt_182_halfLds_half_op_CI_CI_unitstride_sbrr_dirReg
    .private_segment_fixed_size: 0
    .sgpr_count:     32
    .sgpr_spill_count: 0
    .symbol:         fft_rtc_back_len1274_factors_2_13_7_7_wgs_182_tpt_182_halfLds_half_op_CI_CI_unitstride_sbrr_dirReg.kd
    .uniform_work_group_size: 1
    .uses_dynamic_stack: false
    .vgpr_count:     62
    .vgpr_spill_count: 0
    .wavefront_size: 64
amdhsa.target:   amdgcn-amd-amdhsa--gfx906
amdhsa.version:
  - 1
  - 2
...

	.end_amdgpu_metadata
